;; amdgpu-corpus repo=ROCm/rocFFT kind=compiled arch=gfx906 opt=O3
	.text
	.amdgcn_target "amdgcn-amd-amdhsa--gfx906"
	.amdhsa_code_object_version 6
	.protected	fft_rtc_back_len121_factors_11_11_wgs_121_tpt_11_sp_op_CI_CI_sbrc_xy_z_unaligned ; -- Begin function fft_rtc_back_len121_factors_11_11_wgs_121_tpt_11_sp_op_CI_CI_sbrc_xy_z_unaligned
	.globl	fft_rtc_back_len121_factors_11_11_wgs_121_tpt_11_sp_op_CI_CI_sbrc_xy_z_unaligned
	.p2align	8
	.type	fft_rtc_back_len121_factors_11_11_wgs_121_tpt_11_sp_op_CI_CI_sbrc_xy_z_unaligned,@function
fft_rtc_back_len121_factors_11_11_wgs_121_tpt_11_sp_op_CI_CI_sbrc_xy_z_unaligned: ; @fft_rtc_back_len121_factors_11_11_wgs_121_tpt_11_sp_op_CI_CI_sbrc_xy_z_unaligned
; %bb.0:
	s_load_dwordx4 s[8:11], s[4:5], 0x10
	s_load_dwordx2 s[24:25], s[4:5], 0x20
	s_mov_b32 s7, 0
	s_mov_b32 s13, s7
	s_waitcnt lgkmcnt(0)
	s_load_dwordx4 s[0:3], s[8:9], 0x8
	s_load_dwordx4 s[16:19], s[10:11], 0x0
	s_load_dwordx2 s[20:21], s[10:11], 0x10
	s_waitcnt lgkmcnt(0)
	s_add_i32 s3, s2, -1
	s_mul_hi_u32 s3, s3, 0xba2e8ba3
	s_lshr_b32 s3, s3, 3
	s_add_i32 s3, s3, 1
	s_mul_i32 s3, s3, s0
	v_cvt_f32_u32_e32 v1, s3
	s_sub_i32 s8, 0, s3
	v_rcp_iflag_f32_e32 v1, v1
	v_mul_f32_e32 v1, 0x4f7ffffe, v1
	v_cvt_u32_f32_e32 v3, v1
	v_mov_b32_e32 v2, s1
	v_mov_b32_e32 v1, s0
	v_readfirstlane_b32 s9, v3
	s_mul_i32 s8, s8, s9
	s_mul_hi_u32 s8, s9, s8
	s_add_i32 s9, s9, s8
	s_mul_hi_u32 s8, s6, s9
	s_mul_i32 s9, s8, s3
	s_sub_i32 s9, s6, s9
	s_add_i32 s12, s8, 1
	s_sub_i32 s14, s9, s3
	s_cmp_ge_u32 s9, s3
	s_cselect_b32 s8, s12, s8
	s_cselect_b32 s9, s14, s9
	s_add_i32 s12, s8, 1
	s_cmp_ge_u32 s9, s3
	s_cselect_b32 s21, s12, s8
	s_mul_i32 s3, s21, s3
	s_sub_i32 s12, s6, s3
	v_cmp_lt_u64_e32 vcc, s[12:13], v[1:2]
	v_cvt_f32_u32_e32 v1, s0
	s_mov_b64 s[8:9], 0
	s_cbranch_vccnz .LBB0_2
; %bb.1:
	v_rcp_iflag_f32_e32 v2, v1
	s_sub_i32 s3, 0, s0
	v_mul_f32_e32 v2, 0x4f7ffffe, v2
	v_cvt_u32_f32_e32 v2, v2
	v_readfirstlane_b32 s8, v2
	s_mul_i32 s3, s3, s8
	s_mul_hi_u32 s3, s8, s3
	s_add_i32 s8, s8, s3
	s_mul_hi_u32 s3, s12, s8
	s_mul_i32 s9, s3, s0
	s_sub_i32 s9, s12, s9
	s_add_i32 s8, s3, 1
	s_sub_i32 s12, s9, s0
	s_cmp_ge_u32 s9, s0
	s_cselect_b32 s3, s8, s3
	s_cselect_b32 s9, s12, s9
	s_add_i32 s8, s3, 1
	s_cmp_ge_u32 s9, s0
	s_cselect_b32 s8, s8, s3
.LBB0_2:
	s_load_dwordx2 s[22:23], s[4:5], 0x58
	v_mov_b32_e32 v3, s1
	v_mov_b32_e32 v2, s0
	v_cmp_lt_u64_e32 vcc, s[6:7], v[2:3]
	s_cbranch_vccnz .LBB0_4
; %bb.3:
	v_rcp_iflag_f32_e32 v1, v1
	s_sub_i32 s1, 0, s0
	v_mul_f32_e32 v1, 0x4f7ffffe, v1
	v_cvt_u32_f32_e32 v1, v1
	v_readfirstlane_b32 s3, v1
	s_mul_i32 s1, s1, s3
	s_mul_hi_u32 s1, s3, s1
	s_add_i32 s3, s3, s1
	s_mul_hi_u32 s1, s6, s3
	s_mul_i32 s1, s1, s0
	s_sub_i32 s1, s6, s1
	s_sub_i32 s3, s1, s0
	s_cmp_ge_u32 s1, s0
	s_cselect_b32 s1, s3, s1
	s_sub_i32 s3, s1, s0
	s_cmp_ge_u32 s1, s0
	s_cselect_b32 s6, s3, s1
.LBB0_4:
	s_load_dwordx4 s[12:15], s[4:5], 0x0
	s_mul_i32 s7, s8, 11
	s_mul_i32 s0, s6, s18
	s_mul_i32 s1, s7, s20
	s_add_i32 s3, s0, s1
	s_waitcnt lgkmcnt(0)
	s_lshl_b64 s[0:1], s[14:15], 3
	s_add_u32 s18, s10, s0
	s_addc_u32 s19, s11, s1
	s_load_dwordx2 s[26:27], s[18:19], 0x0
	s_load_dwordx4 s[8:11], s[24:25], 0x0
	s_load_dwordx2 s[14:15], s[24:25], 0x10
	v_mul_u32_u24_e32 v1, 0x21e, v0
	v_lshrrev_b32_e32 v3, 16, v1
	s_waitcnt lgkmcnt(0)
	s_mul_i32 s11, s27, s21
	s_mul_hi_u32 s15, s26, s21
	s_mul_i32 s18, s26, s21
	s_add_i32 s15, s15, s11
	s_add_u32 s26, s18, s3
	s_addc_u32 s27, s15, 0
	s_add_u32 s0, s24, s0
	s_addc_u32 s1, s25, s1
	s_load_dwordx2 s[0:1], s[0:1], 0x0
	s_add_i32 s3, s7, 11
	s_cmp_le_u32 s3, s2
	s_cselect_b64 s[18:19], -1, 0
	v_mul_lo_u16_e32 v1, 0x79, v3
	v_sub_u16_e32 v4, v0, v1
	s_mov_b64 s[24:25], -1
	s_and_b64 vcc, exec, s[18:19]
	s_cbranch_vccnz .LBB0_9
; %bb.5:
	v_add_u32_e32 v5, s7, v3
	v_cmp_gt_u32_e32 vcc, s2, v5
	s_and_saveexec_b64 s[24:25], vcc
	s_cbranch_execz .LBB0_8
; %bb.6:
	v_mad_u64_u32 v[1:2], s[28:29], s16, v4, 0
	s_lshl_b64 s[28:29], s[26:27], 3
	s_add_u32 s3, s22, s28
	v_mad_u64_u32 v[6:7], s[30:31], s17, v4, v[2:3]
	s_addc_u32 s11, s23, s29
	v_mov_b32_e32 v7, s11
	v_mov_b32_e32 v2, v6
	v_lshlrev_b64 v[1:2], 3, v[1:2]
	v_lshlrev_b32_e32 v8, 3, v4
	v_add_co_u32_e32 v6, vcc, s3, v1
	v_mul_lo_u32 v1, v3, s20
	v_addc_co_u32_e32 v7, vcc, v7, v2, vcc
	v_mul_u32_u24_e32 v2, 0x3c8, v3
	s_mov_b32 s3, 0
	v_add3_u32 v8, v2, v8, 0
	s_mov_b64 s[28:29], 0
	v_mov_b32_e32 v2, 0
.LBB0_7:                                ; =>This Inner Loop Header: Depth=1
	v_lshlrev_b64 v[9:10], 3, v[1:2]
	s_add_i32 s3, s3, 1
	v_add_co_u32_e32 v9, vcc, v6, v9
	v_addc_co_u32_e32 v10, vcc, v7, v10, vcc
	global_load_dwordx2 v[9:10], v[9:10], off
	v_add_u32_e32 v11, s3, v5
	v_cmp_le_u32_e32 vcc, s2, v11
	v_add_u32_e32 v1, s20, v1
	s_or_b64 s[28:29], vcc, s[28:29]
	s_waitcnt vmcnt(0)
	ds_write_b64 v8, v[9:10]
	v_add_u32_e32 v8, 0x3c8, v8
	s_andn2_b64 exec, exec, s[28:29]
	s_cbranch_execnz .LBB0_7
.LBB0_8:
	s_or_b64 exec, exec, s[24:25]
	s_mov_b64 s[24:25], 0
.LBB0_9:
	s_andn2_b64 vcc, exec, s[24:25]
	s_cbranch_vccnz .LBB0_11
; %bb.10:
	v_mad_u64_u32 v[1:2], s[24:25], s16, v4, 0
	v_mul_lo_u32 v5, s20, v3
	v_mov_b32_e32 v6, 0
	v_mad_u64_u32 v[7:8], s[16:17], s17, v4, v[2:3]
	s_lshl_b64 s[16:17], s[26:27], 3
	s_add_u32 s3, s22, s16
	v_mov_b32_e32 v2, v7
	v_lshlrev_b64 v[1:2], 3, v[1:2]
	s_addc_u32 s11, s23, s17
	v_mov_b32_e32 v7, s11
	v_add_co_u32_e32 v29, vcc, s3, v1
	v_addc_co_u32_e32 v30, vcc, v7, v2, vcc
	v_lshlrev_b64 v[1:2], 3, v[5:6]
	v_add_u32_e32 v5, s20, v5
	v_add_co_u32_e32 v1, vcc, v29, v1
	v_lshlrev_b64 v[7:8], 3, v[5:6]
	v_addc_co_u32_e32 v2, vcc, v30, v2, vcc
	v_add_u32_e32 v5, s20, v5
	v_add_co_u32_e32 v7, vcc, v29, v7
	v_lshlrev_b64 v[9:10], 3, v[5:6]
	v_addc_co_u32_e32 v8, vcc, v30, v8, vcc
	;; [unrolled: 4-line block ×3, first 2 shown]
	v_add_co_u32_e32 v11, vcc, v29, v11
	v_add_u32_e32 v5, s20, v5
	v_addc_co_u32_e32 v12, vcc, v30, v12, vcc
	global_load_dwordx2 v[13:14], v[1:2], off
	global_load_dwordx2 v[15:16], v[7:8], off
	;; [unrolled: 1-line block ×4, first 2 shown]
	v_lshlrev_b64 v[1:2], 3, v[5:6]
	v_add_u32_e32 v5, s20, v5
	v_add_co_u32_e32 v1, vcc, v29, v1
	v_lshlrev_b64 v[7:8], 3, v[5:6]
	v_addc_co_u32_e32 v2, vcc, v30, v2, vcc
	v_add_u32_e32 v5, s20, v5
	v_add_co_u32_e32 v7, vcc, v29, v7
	v_lshlrev_b64 v[9:10], 3, v[5:6]
	v_addc_co_u32_e32 v8, vcc, v30, v8, vcc
	;; [unrolled: 4-line block ×3, first 2 shown]
	v_add_co_u32_e32 v11, vcc, v29, v11
	v_add_u32_e32 v5, s20, v5
	v_addc_co_u32_e32 v12, vcc, v30, v12, vcc
	global_load_dwordx2 v[21:22], v[1:2], off
	global_load_dwordx2 v[23:24], v[7:8], off
	;; [unrolled: 1-line block ×4, first 2 shown]
	v_lshlrev_b64 v[1:2], 3, v[5:6]
	v_add_u32_e32 v5, s20, v5
	v_add_co_u32_e32 v1, vcc, v29, v1
	v_lshlrev_b64 v[7:8], 3, v[5:6]
	v_addc_co_u32_e32 v2, vcc, v30, v2, vcc
	v_add_u32_e32 v5, s20, v5
	v_add_co_u32_e32 v7, vcc, v29, v7
	v_lshlrev_b64 v[5:6], 3, v[5:6]
	v_addc_co_u32_e32 v8, vcc, v30, v8, vcc
	v_add_co_u32_e32 v5, vcc, v29, v5
	v_addc_co_u32_e32 v6, vcc, v30, v6, vcc
	global_load_dwordx2 v[9:10], v[1:2], off
	global_load_dwordx2 v[11:12], v[7:8], off
	;; [unrolled: 1-line block ×3, first 2 shown]
	v_mul_u32_u24_e32 v1, 0x3c8, v3
	v_lshlrev_b32_e32 v2, 3, v4
	v_add3_u32 v1, 0, v1, v2
	v_add_u32_e32 v2, 0x400, v1
	s_waitcnt vmcnt(9)
	ds_write2_b64 v1, v[13:14], v[15:16] offset1:121
	s_waitcnt vmcnt(7)
	ds_write2_b64 v2, v[17:18], v[19:20] offset0:114 offset1:235
	v_add_u32_e32 v2, 0xc00, v1
	s_waitcnt vmcnt(5)
	ds_write2_b64 v2, v[21:22], v[23:24] offset0:100 offset1:221
	v_add_u32_e32 v2, 0x1400, v1
	;; [unrolled: 3-line block ×3, first 2 shown]
	s_waitcnt vmcnt(1)
	ds_write2_b64 v2, v[9:10], v[11:12] offset0:72 offset1:193
	s_waitcnt vmcnt(0)
	ds_write_b64 v1, v[29:30] offset:9680
.LBB0_11:
	s_movk_i32 s3, 0x1746
	v_mul_u32_u24_sdwa v1, v0, s3 dst_sel:DWORD dst_unused:UNUSED_PAD src0_sel:WORD_0 src1_sel:DWORD
	v_lshrrev_b32_e32 v2, 16, v1
	v_add_u32_e32 v1, s7, v2
	s_mov_b32 s3, 0xba2e8ba3
	v_mul_hi_u32 v3, v1, s3
	s_mov_b32 s3, 0x1745d175
	v_mul_hi_u32 v4, v0, s3
	s_waitcnt lgkmcnt(0)
	v_lshrrev_b32_e32 v3, 3, v3
	v_mul_lo_u32 v5, v3, 11
	v_mul_u32_u24_e32 v3, 11, v4
	v_sub_u32_e32 v3, v0, v3
	v_lshlrev_b32_e32 v4, 3, v3
	v_sub_u32_e32 v0, v1, v5
	v_mul_u32_u24_e32 v0, 0x79, v0
	v_lshlrev_b32_e32 v1, 3, v0
	v_add3_u32 v0, 0, v1, v4
	s_barrier
	ds_read_b64 v[21:22], v0
	v_add3_u32 v4, 0, v4, v1
	ds_read2_b64 v[5:8], v4 offset0:11 offset1:22
	ds_read2_b64 v[9:12], v4 offset0:33 offset1:44
	;; [unrolled: 1-line block ×3, first 2 shown]
	s_mov_b32 s15, 0x3f575c64
	s_mov_b32 s3, 0x3ed4b147
	s_waitcnt lgkmcnt(2)
	v_add_f32_e32 v17, v22, v6
	v_add_f32_e32 v17, v17, v8
	s_waitcnt lgkmcnt(1)
	v_add_f32_e32 v17, v17, v10
	v_add_f32_e32 v23, v17, v12
	ds_read2_b64 v[17:20], v4 offset0:55 offset1:66
	v_add_f32_e32 v1, v21, v5
	v_add_f32_e32 v1, v1, v7
	;; [unrolled: 1-line block ×3, first 2 shown]
	s_waitcnt lgkmcnt(1)
	v_add_f32_e32 v25, v15, v9
	v_sub_f32_e32 v26, v9, v15
	s_waitcnt lgkmcnt(0)
	v_add_f32_e32 v9, v23, v18
	v_add_f32_e32 v1, v1, v11
	;; [unrolled: 1-line block ×3, first 2 shown]
	v_sub_f32_e32 v27, v10, v16
	v_add_f32_e32 v28, v13, v11
	v_add_f32_e32 v29, v14, v12
	v_sub_f32_e32 v30, v11, v13
	v_sub_f32_e32 v31, v12, v14
	v_add_f32_e32 v23, v9, v20
	ds_read2_b64 v[9:12], v4 offset0:99 offset1:110
	v_add_f32_e32 v1, v1, v17
	v_add_f32_e32 v1, v1, v19
	;; [unrolled: 1-line block ×6, first 2 shown]
	s_waitcnt lgkmcnt(0)
	v_sub_f32_e32 v23, v6, v12
	v_add_f32_e32 v1, v1, v9
	v_add_f32_e32 v14, v11, v5
	;; [unrolled: 1-line block ×3, first 2 shown]
	v_sub_f32_e32 v16, v5, v11
	v_add_f32_e32 v32, v9, v7
	v_sub_f32_e32 v34, v7, v9
	v_add_f32_e32 v6, v13, v10
	v_add_f32_e32 v5, v1, v11
	;; [unrolled: 1-line block ×3, first 2 shown]
	v_sub_f32_e32 v38, v18, v20
	v_mul_f32_e32 v7, 0xbf0a6770, v23
	v_mul_f32_e32 v9, 0xbf68dda4, v23
	;; [unrolled: 1-line block ×5, first 2 shown]
	v_add_f32_e32 v33, v10, v8
	v_sub_f32_e32 v35, v8, v10
	v_add_f32_e32 v6, v6, v12
	v_add_f32_e32 v1, v19, v17
	v_sub_f32_e32 v37, v17, v19
	v_mov_b32_e32 v8, v7
	v_mov_b32_e32 v10, v9
	s_mov_b32 s11, 0xbe11bafb
	v_mov_b32_e32 v12, v11
	s_mov_b32 s16, 0xbf27a4f4
	;; [unrolled: 2-line block ×3, first 2 shown]
	v_mov_b32_e32 v19, v18
	v_fmac_f32_e32 v8, 0x3f575c64, v14
	v_fma_f32 v7, v14, s15, -v7
	v_fmac_f32_e32 v10, 0x3ed4b147, v14
	v_fma_f32 v9, v14, s3, -v9
	;; [unrolled: 2-line block ×5, first 2 shown]
	v_mul_f32_e32 v18, 0x3f575c64, v15
	v_mov_b32_e32 v20, v18
	v_mul_f32_e32 v23, 0x3ed4b147, v15
	v_mul_f32_e32 v40, 0xbe11bafb, v15
	;; [unrolled: 1-line block ×4, first 2 shown]
	v_fmac_f32_e32 v20, 0x3f0a6770, v16
	v_mov_b32_e32 v39, v23
	v_mov_b32_e32 v41, v40
	;; [unrolled: 1-line block ×4, first 2 shown]
	v_add_f32_e32 v46, v21, v9
	v_mul_f32_e32 v9, 0xbf68dda4, v35
	v_fmac_f32_e32 v18, 0xbf0a6770, v16
	v_fmac_f32_e32 v39, 0x3f68dda4, v16
	;; [unrolled: 1-line block ×9, first 2 shown]
	v_add_f32_e32 v16, v22, v20
	v_add_f32_e32 v20, v21, v7
	;; [unrolled: 1-line block ×3, first 2 shown]
	v_mov_b32_e32 v7, v9
	v_mul_f32_e32 v11, 0xbf7d64f0, v27
	v_add_f32_e32 v8, v21, v8
	v_add_f32_e32 v47, v21, v12
	v_fmac_f32_e32 v7, 0x3ed4b147, v32
	v_mov_b32_e32 v12, v11
	v_add_f32_e32 v45, v21, v10
	v_add_f32_e32 v7, v7, v8
	v_mul_f32_e32 v10, 0x3ed4b147, v33
	v_fmac_f32_e32 v12, 0xbe11bafb, v25
	v_mov_b32_e32 v8, v10
	v_add_f32_e32 v7, v12, v7
	v_mul_f32_e32 v12, 0xbe11bafb, v24
	v_add_f32_e32 v50, v21, v13
	v_fmac_f32_e32 v8, 0x3f68dda4, v34
	v_mov_b32_e32 v13, v12
	v_add_f32_e32 v8, v8, v16
	v_fmac_f32_e32 v13, 0x3f7d64f0, v26
	v_add_f32_e32 v8, v13, v8
	v_mul_f32_e32 v13, 0xbf4178ce, v31
	v_add_f32_e32 v52, v21, v14
	v_mov_b32_e32 v14, v13
	v_fmac_f32_e32 v14, 0xbf27a4f4, v28
	v_add_f32_e32 v7, v14, v7
	v_mul_f32_e32 v14, 0xbf27a4f4, v29
	v_add_f32_e32 v53, v22, v15
	v_mov_b32_e32 v15, v14
	v_fmac_f32_e32 v15, 0x3f4178ce, v30
	v_add_f32_e32 v8, v15, v8
	v_mul_f32_e32 v15, 0xbe903f40, v38
	v_fma_f32 v9, v32, s3, -v9
	v_add_f32_e32 v18, v22, v18
	v_mov_b32_e32 v16, v15
	v_add_f32_e32 v9, v9, v20
	v_fmac_f32_e32 v10, 0xbf68dda4, v34
	v_fma_f32 v11, v25, s11, -v11
	v_fmac_f32_e32 v16, 0xbf75a155, v1
	v_add_f32_e32 v10, v10, v18
	v_add_f32_e32 v9, v11, v9
	v_fmac_f32_e32 v12, 0xbf7d64f0, v26
	v_fma_f32 v11, v28, s16, -v13
	v_add_f32_e32 v7, v16, v7
	v_mul_f32_e32 v16, 0xbf75a155, v36
	v_add_f32_e32 v10, v12, v10
	v_add_f32_e32 v9, v11, v9
	v_fmac_f32_e32 v14, 0xbf4178ce, v30
	v_fma_f32 v11, v1, s17, -v15
	v_mul_f32_e32 v13, 0xbf4178ce, v35
	v_add_f32_e32 v49, v21, v17
	v_mov_b32_e32 v17, v16
	v_add_f32_e32 v10, v14, v10
	v_add_f32_e32 v9, v11, v9
	v_fmac_f32_e32 v16, 0xbe903f40, v37
	v_mov_b32_e32 v11, v13
	v_mul_f32_e32 v15, 0x3e903f40, v27
	v_add_f32_e32 v10, v16, v10
	v_fmac_f32_e32 v11, 0xbf27a4f4, v32
	v_mov_b32_e32 v16, v15
	v_add_f32_e32 v11, v11, v45
	v_mul_f32_e32 v14, 0xbf27a4f4, v33
	v_fmac_f32_e32 v16, 0xbf75a155, v25
	v_fmac_f32_e32 v17, 0x3e903f40, v37
	v_mov_b32_e32 v12, v14
	v_add_f32_e32 v11, v16, v11
	v_mul_f32_e32 v16, 0xbf75a155, v24
	v_add_f32_e32 v39, v22, v39
	v_add_f32_e32 v8, v17, v8
	v_fmac_f32_e32 v12, 0x3f4178ce, v34
	v_mov_b32_e32 v17, v16
	v_add_f32_e32 v12, v12, v39
	v_fmac_f32_e32 v17, 0xbe903f40, v26
	v_add_f32_e32 v12, v17, v12
	v_mul_f32_e32 v17, 0x3f7d64f0, v31
	v_mov_b32_e32 v18, v17
	v_fmac_f32_e32 v18, 0xbe11bafb, v28
	v_add_f32_e32 v11, v18, v11
	v_mul_f32_e32 v18, 0xbe11bafb, v29
	v_add_f32_e32 v51, v21, v19
	v_mov_b32_e32 v19, v18
	v_fmac_f32_e32 v19, 0xbf7d64f0, v30
	v_add_f32_e32 v12, v19, v12
	v_mul_f32_e32 v19, 0x3f0a6770, v38
	v_fma_f32 v13, v32, s16, -v13
	v_add_f32_e32 v23, v22, v23
	v_mov_b32_e32 v20, v19
	v_add_f32_e32 v13, v13, v46
	v_fmac_f32_e32 v14, 0xbf4178ce, v34
	v_fma_f32 v15, v25, s17, -v15
	v_fmac_f32_e32 v20, 0x3f575c64, v1
	v_add_f32_e32 v14, v14, v23
	v_add_f32_e32 v13, v15, v13
	v_fmac_f32_e32 v16, 0x3e903f40, v26
	v_fma_f32 v15, v28, s11, -v17
	v_add_f32_e32 v11, v20, v11
	v_mul_f32_e32 v20, 0x3f575c64, v36
	v_add_f32_e32 v14, v16, v14
	v_add_f32_e32 v13, v15, v13
	v_fmac_f32_e32 v18, 0x3f7d64f0, v30
	v_fma_f32 v15, v1, s15, -v19
	v_mul_f32_e32 v17, 0x3e903f40, v35
	v_mov_b32_e32 v21, v20
	v_add_f32_e32 v14, v18, v14
	v_add_f32_e32 v13, v15, v13
	v_fmac_f32_e32 v20, 0x3f0a6770, v37
	v_mov_b32_e32 v15, v17
	v_mul_f32_e32 v19, 0x3f68dda4, v27
	v_add_f32_e32 v14, v20, v14
	v_fmac_f32_e32 v15, 0xbf75a155, v32
	v_mov_b32_e32 v20, v19
	v_add_f32_e32 v15, v15, v47
	v_mul_f32_e32 v18, 0xbf75a155, v33
	v_fmac_f32_e32 v20, 0x3ed4b147, v25
	v_fmac_f32_e32 v21, 0xbf0a6770, v37
	v_mov_b32_e32 v16, v18
	v_add_f32_e32 v15, v20, v15
	v_mul_f32_e32 v20, 0x3ed4b147, v24
	v_add_f32_e32 v41, v22, v41
	v_add_f32_e32 v12, v21, v12
	v_fmac_f32_e32 v16, 0xbe903f40, v34
	v_mov_b32_e32 v21, v20
	v_add_f32_e32 v16, v16, v41
	v_fmac_f32_e32 v21, 0xbf68dda4, v26
	v_add_f32_e32 v16, v21, v16
	v_mul_f32_e32 v21, 0xbf0a6770, v31
	v_add_f32_e32 v40, v22, v40
	v_add_f32_e32 v43, v22, v43
	v_add_f32_e32 v42, v22, v42
	v_add_f32_e32 v44, v22, v44
	v_mov_b32_e32 v22, v21
	v_fmac_f32_e32 v22, 0x3f575c64, v28
	v_add_f32_e32 v15, v22, v15
	v_mul_f32_e32 v22, 0x3f575c64, v29
	v_mov_b32_e32 v23, v22
	v_fmac_f32_e32 v23, 0x3f0a6770, v30
	v_add_f32_e32 v16, v23, v16
	v_mul_f32_e32 v23, 0xbf4178ce, v38
	v_fma_f32 v17, v32, s17, -v17
	v_mov_b32_e32 v39, v23
	v_add_f32_e32 v17, v17, v48
	v_fmac_f32_e32 v18, 0x3e903f40, v34
	v_fma_f32 v19, v25, s3, -v19
	v_fmac_f32_e32 v39, 0xbf27a4f4, v1
	v_add_f32_e32 v18, v18, v40
	v_add_f32_e32 v17, v19, v17
	v_fmac_f32_e32 v20, 0x3f68dda4, v26
	v_fma_f32 v19, v28, s15, -v21
	v_add_f32_e32 v15, v39, v15
	v_mul_f32_e32 v39, 0xbf27a4f4, v36
	v_add_f32_e32 v18, v20, v18
	v_add_f32_e32 v17, v19, v17
	v_fmac_f32_e32 v22, 0xbf0a6770, v30
	v_fma_f32 v19, v1, s16, -v23
	v_mul_f32_e32 v21, 0x3f7d64f0, v35
	v_mov_b32_e32 v41, v39
	v_add_f32_e32 v18, v22, v18
	v_add_f32_e32 v17, v19, v17
	v_fmac_f32_e32 v39, 0xbf4178ce, v37
	v_mov_b32_e32 v19, v21
	v_mul_f32_e32 v23, 0xbf0a6770, v27
	v_add_f32_e32 v18, v39, v18
	v_fmac_f32_e32 v19, 0xbe11bafb, v32
	v_mov_b32_e32 v39, v23
	v_add_f32_e32 v19, v19, v49
	v_mul_f32_e32 v22, 0xbe11bafb, v33
	v_fmac_f32_e32 v39, 0x3f575c64, v25
	v_mov_b32_e32 v20, v22
	v_add_f32_e32 v19, v39, v19
	v_mul_f32_e32 v39, 0x3f575c64, v24
	v_fmac_f32_e32 v20, 0xbf7d64f0, v34
	v_mov_b32_e32 v40, v39
	v_add_f32_e32 v20, v20, v43
	v_fmac_f32_e32 v40, 0x3f0a6770, v26
	v_fmac_f32_e32 v41, 0x3f4178ce, v37
	v_add_f32_e32 v20, v40, v20
	v_mul_f32_e32 v40, 0xbe903f40, v31
	v_add_f32_e32 v16, v41, v16
	v_mov_b32_e32 v41, v40
	v_fmac_f32_e32 v41, 0xbf75a155, v28
	v_add_f32_e32 v19, v41, v19
	v_mul_f32_e32 v41, 0xbf75a155, v29
	v_mov_b32_e32 v43, v41
	v_fma_f32 v21, v32, s11, -v21
	v_fmac_f32_e32 v43, 0x3e903f40, v30
	v_add_f32_e32 v21, v21, v50
	v_fma_f32 v23, v25, s15, -v23
	v_add_f32_e32 v20, v43, v20
	v_mul_f32_e32 v43, 0x3f68dda4, v38
	v_add_f32_e32 v21, v23, v21
	v_fma_f32 v23, v28, s17, -v40
	v_add_f32_e32 v21, v23, v21
	v_fma_f32 v23, v1, s3, -v43
	v_mul_f32_e32 v35, 0x3f0a6770, v35
	v_add_f32_e32 v21, v23, v21
	v_mov_b32_e32 v23, v35
	v_mul_f32_e32 v27, 0xbf4178ce, v27
	v_fmac_f32_e32 v22, 0x3f7d64f0, v34
	v_fmac_f32_e32 v23, 0x3f575c64, v32
	v_mov_b32_e32 v40, v27
	v_add_f32_e32 v22, v22, v42
	v_fmac_f32_e32 v39, 0xbf0a6770, v26
	v_add_f32_e32 v23, v23, v51
	v_mul_f32_e32 v33, 0x3f575c64, v33
	v_fmac_f32_e32 v40, 0xbf27a4f4, v25
	v_add_f32_e32 v22, v39, v22
	v_mov_b32_e32 v39, v33
	v_add_f32_e32 v23, v40, v23
	v_mul_f32_e32 v40, 0xbf27a4f4, v24
	v_fmac_f32_e32 v39, 0xbf0a6770, v34
	v_mov_b32_e32 v24, v40
	v_add_f32_e32 v39, v39, v44
	v_fmac_f32_e32 v24, 0x3f4178ce, v26
	v_mul_f32_e32 v31, 0x3f68dda4, v31
	v_add_f32_e32 v24, v24, v39
	v_mov_b32_e32 v39, v31
	v_fmac_f32_e32 v39, 0x3ed4b147, v28
	v_mul_f32_e32 v29, 0x3ed4b147, v29
	v_add_f32_e32 v23, v39, v23
	v_mov_b32_e32 v39, v29
	v_mov_b32_e32 v45, v43
	v_fmac_f32_e32 v39, 0xbf68dda4, v30
	v_mul_f32_e32 v38, 0xbf7d64f0, v38
	v_fma_f32 v32, v32, s15, -v35
	v_fmac_f32_e32 v45, 0x3ed4b147, v1
	v_add_f32_e32 v24, v39, v24
	v_mov_b32_e32 v39, v38
	v_add_f32_e32 v32, v32, v52
	v_fmac_f32_e32 v33, 0x3f0a6770, v34
	v_fma_f32 v25, v25, s16, -v27
	v_add_f32_e32 v19, v45, v19
	v_mul_f32_e32 v45, 0x3ed4b147, v36
	v_fmac_f32_e32 v39, 0xbe11bafb, v1
	v_mul_f32_e32 v36, 0xbe11bafb, v36
	v_add_f32_e32 v33, v33, v53
	v_add_f32_e32 v25, v25, v32
	v_fmac_f32_e32 v40, 0xbf4178ce, v26
	v_fma_f32 v27, v28, s3, -v31
	v_mov_b32_e32 v46, v45
	v_fmac_f32_e32 v41, 0xbe903f40, v30
	v_add_f32_e32 v23, v39, v23
	v_mov_b32_e32 v39, v36
	v_add_f32_e32 v26, v40, v33
	v_add_f32_e32 v25, v27, v25
	v_fmac_f32_e32 v29, 0x3f68dda4, v30
	v_fma_f32 v1, v1, s11, -v38
	s_movk_i32 s20, 0x50
	v_fmac_f32_e32 v46, 0xbf68dda4, v37
	v_add_f32_e32 v22, v41, v22
	v_fmac_f32_e32 v45, 0x3f68dda4, v37
	v_fmac_f32_e32 v39, 0x3f7d64f0, v37
	v_add_f32_e32 v26, v29, v26
	v_fmac_f32_e32 v36, 0xbf7d64f0, v37
	v_add_f32_e32 v25, v1, v25
	v_mad_u32_u24 v1, v3, s20, v4
	v_add_f32_e32 v20, v46, v20
	v_add_f32_e32 v22, v45, v22
	;; [unrolled: 1-line block ×4, first 2 shown]
	s_barrier
	ds_write2_b64 v1, v[5:6], v[7:8] offset1:1
	ds_write2_b64 v1, v[11:12], v[15:16] offset0:2 offset1:3
	ds_write2_b64 v1, v[19:20], v[23:24] offset0:4 offset1:5
	;; [unrolled: 1-line block ×4, first 2 shown]
	ds_write_b64 v1, v[9:10] offset:80
	v_mul_u32_u24_e32 v1, 10, v3
	v_lshlrev_b32_e32 v1, 3, v1
	s_waitcnt lgkmcnt(0)
	s_barrier
	global_load_dwordx4 v[5:8], v1, s[12:13]
	global_load_dwordx4 v[9:12], v1, s[12:13] offset:16
	global_load_dwordx4 v[13:16], v1, s[12:13] offset:32
	;; [unrolled: 1-line block ×4, first 2 shown]
	ds_read2_b64 v[25:28], v4 offset0:11 offset1:22
	ds_read2_b64 v[29:32], v4 offset0:33 offset1:44
	s_waitcnt vmcnt(4) lgkmcnt(1)
	v_mul_f32_e32 v1, v6, v25
	v_fma_f32 v34, v5, v26, -v1
	v_mul_f32_e32 v35, v8, v28
	v_mul_f32_e32 v1, v8, v27
	v_fmac_f32_e32 v35, v7, v27
	v_fma_f32 v27, v7, v28, -v1
	s_waitcnt vmcnt(3) lgkmcnt(0)
	v_mul_f32_e32 v28, v10, v30
	v_mul_f32_e32 v1, v10, v29
	v_fmac_f32_e32 v28, v9, v29
	v_fma_f32 v29, v9, v30, -v1
	ds_read2_b32 v[9:10], v4 offset0:110 offset1:111
	v_mul_f32_e32 v33, v6, v26
	v_fmac_f32_e32 v33, v5, v25
	ds_read2_b64 v[5:8], v4 offset0:66 offset1:77
	ds_read_b64 v[25:26], v4 offset:880
	v_mul_f32_e32 v30, v12, v32
	v_mul_f32_e32 v1, v12, v31
	v_fmac_f32_e32 v30, v11, v31
	v_fma_f32 v31, v11, v32, -v1
	s_waitcnt vmcnt(2) lgkmcnt(2)
	v_mul_f32_e32 v32, v10, v14
	v_mul_f32_e32 v1, v14, v9
	v_fmac_f32_e32 v32, v13, v9
	v_fma_f32 v13, v10, v13, -v1
	ds_read2_b64 v[9:12], v4 offset0:88 offset1:99
	s_waitcnt lgkmcnt(2)
	v_mul_f32_e32 v14, v6, v16
	v_mul_f32_e32 v1, v5, v16
	v_fmac_f32_e32 v14, v5, v15
	v_fma_f32 v15, v6, v15, -v1
	ds_read_b64 v[5:6], v0
	s_waitcnt vmcnt(1)
	v_mul_f32_e32 v16, v8, v18
	v_mul_f32_e32 v1, v7, v18
	v_fmac_f32_e32 v16, v7, v17
	v_fma_f32 v7, v8, v17, -v1
	s_waitcnt lgkmcnt(1)
	v_mul_f32_e32 v8, v10, v20
	v_mul_f32_e32 v1, v9, v20
	v_fmac_f32_e32 v8, v9, v19
	v_fma_f32 v9, v10, v19, -v1
	s_waitcnt vmcnt(0)
	v_mul_f32_e32 v10, v12, v22
	v_mul_f32_e32 v1, v11, v22
	v_fmac_f32_e32 v10, v11, v21
	v_fma_f32 v11, v12, v21, -v1
	s_waitcnt lgkmcnt(0)
	v_add_f32_e32 v1, v34, v6
	v_mul_f32_e32 v0, v25, v24
	v_add_f32_e32 v1, v1, v27
	v_fma_f32 v17, v26, v23, -v0
	v_add_f32_e32 v0, v33, v5
	v_add_f32_e32 v1, v1, v29
	;; [unrolled: 1-line block ×14, first 2 shown]
	v_mul_f32_e32 v12, v26, v24
	v_add_f32_e32 v0, v0, v8
	v_add_f32_e32 v1, v1, v17
	;; [unrolled: 1-line block ×3, first 2 shown]
	v_sub_f32_e32 v17, v34, v17
	v_fmac_f32_e32 v12, v25, v23
	v_add_f32_e32 v0, v0, v10
	v_mul_f32_e32 v20, 0xbf0a6770, v17
	v_mul_f32_e32 v22, 0xbf68dda4, v17
	;; [unrolled: 1-line block ×5, first 2 shown]
	v_add_f32_e32 v0, v0, v12
	v_add_f32_e32 v18, v33, v12
	v_sub_f32_e32 v12, v33, v12
	v_mov_b32_e32 v21, v20
	v_mov_b32_e32 v23, v22
	v_mov_b32_e32 v25, v24
	v_mov_b32_e32 v33, v26
	v_mov_b32_e32 v34, v17
	v_fmac_f32_e32 v21, 0x3f575c64, v18
	v_fma_f32 v20, v18, s15, -v20
	v_fmac_f32_e32 v23, 0x3ed4b147, v18
	v_fma_f32 v22, v18, s3, -v22
	;; [unrolled: 2-line block ×5, first 2 shown]
	v_mul_f32_e32 v18, 0x3f575c64, v19
	v_mul_f32_e32 v37, 0x3ed4b147, v19
	;; [unrolled: 1-line block ×5, first 2 shown]
	v_mov_b32_e32 v36, v18
	v_mov_b32_e32 v38, v37
	;; [unrolled: 1-line block ×5, first 2 shown]
	v_add_f32_e32 v46, v27, v11
	v_fmac_f32_e32 v36, 0x3f0a6770, v12
	v_fmac_f32_e32 v18, 0xbf0a6770, v12
	;; [unrolled: 1-line block ×10, first 2 shown]
	v_sub_f32_e32 v27, v27, v11
	v_mul_f32_e32 v11, 0x3ed4b147, v46
	v_add_f32_e32 v12, v21, v5
	v_add_f32_e32 v21, v36, v6
	;; [unrolled: 1-line block ×12, first 2 shown]
	v_sub_f32_e32 v35, v35, v10
	v_mov_b32_e32 v6, v11
	v_fmac_f32_e32 v6, 0x3f68dda4, v35
	v_mul_f32_e32 v10, 0xbf68dda4, v27
	v_add_f32_e32 v6, v6, v21
	v_add_f32_e32 v21, v29, v9
	v_sub_f32_e32 v29, v29, v9
	v_add_f32_e32 v20, v20, v5
	v_add_f32_e32 v23, v23, v5
	;; [unrolled: 1-line block ×9, first 2 shown]
	v_mov_b32_e32 v5, v10
	v_add_f32_e32 v47, v28, v8
	v_sub_f32_e32 v28, v28, v8
	v_mul_f32_e32 v8, 0xbf7d64f0, v29
	v_fmac_f32_e32 v5, 0x3ed4b147, v45
	v_mov_b32_e32 v9, v8
	v_add_f32_e32 v5, v5, v12
	v_fmac_f32_e32 v9, 0xbe11bafb, v47
	v_add_f32_e32 v5, v9, v5
	v_mul_f32_e32 v9, 0xbe11bafb, v21
	v_mov_b32_e32 v12, v9
	v_add_f32_e32 v49, v31, v7
	v_sub_f32_e32 v31, v31, v7
	v_fmac_f32_e32 v12, 0x3f7d64f0, v28
	v_mul_f32_e32 v7, 0xbf4178ce, v31
	v_add_f32_e32 v6, v12, v6
	v_add_f32_e32 v48, v30, v16
	v_mov_b32_e32 v12, v7
	v_sub_f32_e32 v52, v13, v15
	v_fmac_f32_e32 v12, 0xbf27a4f4, v48
	v_add_f32_e32 v51, v13, v15
	v_mul_f32_e32 v13, 0xbe903f40, v52
	v_fma_f32 v10, v45, s3, -v10
	v_fmac_f32_e32 v11, 0xbf68dda4, v35
	v_sub_f32_e32 v30, v30, v16
	v_add_f32_e32 v5, v12, v5
	v_mul_f32_e32 v12, 0xbf27a4f4, v49
	v_add_f32_e32 v50, v32, v14
	v_sub_f32_e32 v32, v32, v14
	v_mov_b32_e32 v14, v13
	v_add_f32_e32 v10, v10, v20
	v_add_f32_e32 v11, v11, v18
	v_fma_f32 v8, v47, s11, -v8
	v_fmac_f32_e32 v9, 0xbf7d64f0, v28
	v_mov_b32_e32 v16, v12
	v_fmac_f32_e32 v14, 0xbf75a155, v50
	v_add_f32_e32 v8, v8, v10
	v_add_f32_e32 v9, v9, v11
	v_fma_f32 v7, v48, s16, -v7
	v_fmac_f32_e32 v12, 0xbf4178ce, v30
	v_add_f32_e32 v5, v14, v5
	v_mul_f32_e32 v14, 0xbf75a155, v51
	v_add_f32_e32 v7, v7, v8
	v_add_f32_e32 v8, v12, v9
	v_fma_f32 v9, v50, s17, -v13
	v_mul_f32_e32 v11, 0xbf4178ce, v27
	v_mov_b32_e32 v15, v14
	v_add_f32_e32 v7, v9, v7
	v_fmac_f32_e32 v14, 0xbe903f40, v32
	v_mov_b32_e32 v9, v11
	v_mul_f32_e32 v13, 0x3e903f40, v29
	v_add_f32_e32 v8, v14, v8
	v_fmac_f32_e32 v9, 0xbf27a4f4, v45
	v_mov_b32_e32 v14, v13
	v_fmac_f32_e32 v16, 0x3f4178ce, v30
	v_add_f32_e32 v9, v9, v23
	v_mul_f32_e32 v12, 0xbf27a4f4, v46
	v_fmac_f32_e32 v14, 0xbf75a155, v47
	v_add_f32_e32 v6, v16, v6
	v_fmac_f32_e32 v15, 0x3e903f40, v32
	v_mov_b32_e32 v10, v12
	v_add_f32_e32 v9, v14, v9
	v_mul_f32_e32 v14, 0xbf75a155, v21
	v_add_f32_e32 v6, v15, v6
	v_fmac_f32_e32 v10, 0x3f4178ce, v35
	v_mov_b32_e32 v15, v14
	v_add_f32_e32 v10, v10, v36
	v_fmac_f32_e32 v15, 0xbe903f40, v28
	v_add_f32_e32 v10, v15, v10
	v_mul_f32_e32 v15, 0x3f7d64f0, v31
	v_mov_b32_e32 v16, v15
	v_fmac_f32_e32 v16, 0xbe11bafb, v48
	v_add_f32_e32 v9, v16, v9
	v_mul_f32_e32 v16, 0xbe11bafb, v49
	v_mov_b32_e32 v17, v16
	v_fmac_f32_e32 v17, 0xbf7d64f0, v30
	v_add_f32_e32 v10, v17, v10
	v_mul_f32_e32 v17, 0x3f0a6770, v52
	v_fma_f32 v11, v45, s16, -v11
	v_mov_b32_e32 v18, v17
	v_add_f32_e32 v11, v11, v22
	v_fmac_f32_e32 v12, 0xbf4178ce, v35
	v_fma_f32 v13, v47, s17, -v13
	v_fmac_f32_e32 v18, 0x3f575c64, v50
	v_add_f32_e32 v12, v12, v37
	v_add_f32_e32 v11, v13, v11
	v_fmac_f32_e32 v14, 0x3e903f40, v28
	v_fma_f32 v13, v48, s11, -v15
	v_add_f32_e32 v9, v18, v9
	v_mul_f32_e32 v18, 0x3f575c64, v51
	v_add_f32_e32 v12, v14, v12
	v_add_f32_e32 v11, v13, v11
	v_fmac_f32_e32 v16, 0x3f7d64f0, v30
	v_fma_f32 v13, v50, s15, -v17
	v_mul_f32_e32 v15, 0x3e903f40, v27
	v_mov_b32_e32 v19, v18
	v_add_f32_e32 v12, v16, v12
	v_add_f32_e32 v11, v13, v11
	v_fmac_f32_e32 v18, 0x3f0a6770, v32
	v_mov_b32_e32 v13, v15
	v_mul_f32_e32 v17, 0x3f68dda4, v29
	v_add_f32_e32 v12, v18, v12
	v_fmac_f32_e32 v13, 0xbf75a155, v45
	v_mov_b32_e32 v18, v17
	v_add_f32_e32 v13, v13, v25
	v_mul_f32_e32 v16, 0xbf75a155, v46
	v_fmac_f32_e32 v18, 0x3ed4b147, v47
	v_fmac_f32_e32 v19, 0xbf0a6770, v32
	v_mov_b32_e32 v14, v16
	v_add_f32_e32 v13, v18, v13
	v_mul_f32_e32 v18, 0x3ed4b147, v21
	v_add_f32_e32 v10, v19, v10
	v_fmac_f32_e32 v14, 0xbe903f40, v35
	v_mov_b32_e32 v19, v18
	v_add_f32_e32 v14, v14, v38
	v_fmac_f32_e32 v19, 0xbf68dda4, v28
	v_add_f32_e32 v14, v19, v14
	v_mul_f32_e32 v19, 0xbf0a6770, v31
	v_mov_b32_e32 v20, v19
	v_fmac_f32_e32 v20, 0x3f575c64, v48
	v_add_f32_e32 v13, v20, v13
	v_mul_f32_e32 v20, 0x3f575c64, v49
	v_mov_b32_e32 v22, v20
	v_fmac_f32_e32 v22, 0x3f0a6770, v30
	v_add_f32_e32 v14, v22, v14
	v_mul_f32_e32 v22, 0xbf4178ce, v52
	v_fma_f32 v15, v45, s17, -v15
	v_mov_b32_e32 v23, v22
	v_add_f32_e32 v15, v15, v24
	v_fmac_f32_e32 v16, 0x3e903f40, v35
	v_fma_f32 v17, v47, s3, -v17
	v_fmac_f32_e32 v23, 0xbf27a4f4, v50
	v_add_f32_e32 v16, v16, v39
	v_add_f32_e32 v15, v17, v15
	v_fmac_f32_e32 v18, 0x3f68dda4, v28
	v_fma_f32 v17, v48, s15, -v19
	v_add_f32_e32 v13, v23, v13
	v_mul_f32_e32 v23, 0xbf27a4f4, v51
	v_add_f32_e32 v16, v18, v16
	v_add_f32_e32 v15, v17, v15
	v_fmac_f32_e32 v20, 0xbf0a6770, v30
	v_fma_f32 v17, v50, s16, -v22
	v_mul_f32_e32 v19, 0x3f7d64f0, v27
	v_mov_b32_e32 v25, v23
	v_add_f32_e32 v16, v20, v16
	v_add_f32_e32 v15, v17, v15
	v_fmac_f32_e32 v23, 0xbf4178ce, v32
	v_mov_b32_e32 v17, v19
	v_mul_f32_e32 v22, 0xbf0a6770, v29
	v_add_f32_e32 v16, v23, v16
	v_fmac_f32_e32 v17, 0xbe11bafb, v45
	v_mov_b32_e32 v23, v22
	v_add_f32_e32 v17, v17, v33
	v_mul_f32_e32 v20, 0xbe11bafb, v46
	v_fmac_f32_e32 v23, 0x3f575c64, v47
	v_mov_b32_e32 v18, v20
	v_add_f32_e32 v17, v23, v17
	v_mul_f32_e32 v23, 0x3f575c64, v21
	v_fmac_f32_e32 v18, 0xbf7d64f0, v35
	v_mov_b32_e32 v24, v23
	v_add_f32_e32 v18, v18, v40
	v_fmac_f32_e32 v24, 0x3f0a6770, v28
	v_fmac_f32_e32 v25, 0x3f4178ce, v32
	v_add_f32_e32 v18, v24, v18
	v_mul_f32_e32 v24, 0xbe903f40, v31
	v_add_f32_e32 v14, v25, v14
	v_mov_b32_e32 v25, v24
	v_fmac_f32_e32 v25, 0xbf75a155, v48
	v_add_f32_e32 v17, v25, v17
	v_mul_f32_e32 v25, 0xbf75a155, v49
	v_mov_b32_e32 v33, v25
	v_fma_f32 v19, v45, s11, -v19
	v_fmac_f32_e32 v33, 0x3e903f40, v30
	v_add_f32_e32 v19, v19, v26
	v_fmac_f32_e32 v20, 0x3f7d64f0, v35
	v_fma_f32 v22, v47, s15, -v22
	v_add_f32_e32 v18, v33, v18
	v_mul_f32_e32 v33, 0x3f68dda4, v52
	v_add_f32_e32 v20, v20, v41
	v_add_f32_e32 v19, v22, v19
	v_fmac_f32_e32 v23, 0xbf0a6770, v28
	v_fma_f32 v22, v48, s17, -v24
	v_add_f32_e32 v20, v23, v20
	v_add_f32_e32 v19, v22, v19
	v_fma_f32 v22, v50, s3, -v33
	v_mul_f32_e32 v23, 0x3f0a6770, v27
	v_add_f32_e32 v19, v22, v19
	v_mov_b32_e32 v22, v23
	v_mul_f32_e32 v26, 0xbf4178ce, v29
	v_fmac_f32_e32 v22, 0x3f575c64, v45
	v_mov_b32_e32 v27, v26
	v_fmac_f32_e32 v25, 0xbe903f40, v30
	v_add_f32_e32 v22, v22, v34
	v_mul_f32_e32 v24, 0x3f575c64, v46
	v_fmac_f32_e32 v27, 0xbf27a4f4, v47
	v_add_f32_e32 v20, v25, v20
	v_mov_b32_e32 v25, v24
	v_add_f32_e32 v22, v27, v22
	v_mul_f32_e32 v27, 0xbf27a4f4, v21
	v_fmac_f32_e32 v25, 0xbf0a6770, v35
	v_mov_b32_e32 v21, v27
	v_add_f32_e32 v25, v25, v42
	v_fmac_f32_e32 v21, 0x3f4178ce, v28
	v_add_f32_e32 v21, v21, v25
	v_mul_f32_e32 v25, 0x3f68dda4, v31
	v_mov_b32_e32 v29, v25
	v_fmac_f32_e32 v29, 0x3ed4b147, v48
	v_add_f32_e32 v22, v29, v22
	v_mul_f32_e32 v29, 0x3ed4b147, v49
	v_mov_b32_e32 v31, v29
	v_mov_b32_e32 v36, v33
	v_fmac_f32_e32 v31, 0xbf68dda4, v30
	v_mul_f32_e32 v33, 0xbf7d64f0, v52
	v_fmac_f32_e32 v36, 0x3ed4b147, v50
	v_add_f32_e32 v31, v31, v21
	v_mov_b32_e32 v21, v33
	v_fma_f32 v23, v45, s15, -v23
	v_fmac_f32_e32 v24, 0x3f0a6770, v35
	v_add_f32_e32 v17, v36, v17
	v_mul_f32_e32 v36, 0x3ed4b147, v51
	v_fmac_f32_e32 v21, 0xbe11bafb, v50
	v_mul_f32_e32 v34, 0xbe11bafb, v51
	v_add_f32_e32 v23, v23, v43
	v_add_f32_e32 v24, v24, v44
	v_fma_f32 v26, v47, s16, -v26
	v_fmac_f32_e32 v27, 0xbf4178ce, v28
	v_mov_b32_e32 v37, v36
	v_add_f32_e32 v21, v21, v22
	v_mov_b32_e32 v22, v34
	v_add_f32_e32 v23, v26, v23
	v_add_f32_e32 v24, v27, v24
	v_fma_f32 v25, v48, s3, -v25
	v_fmac_f32_e32 v29, 0x3f68dda4, v30
	v_fmac_f32_e32 v37, 0xbf68dda4, v32
	;; [unrolled: 1-line block ×4, first 2 shown]
	v_add_f32_e32 v23, v25, v23
	v_add_f32_e32 v24, v29, v24
	v_fma_f32 v25, v50, s11, -v33
	v_fmac_f32_e32 v34, 0xbf7d64f0, v32
	v_add_f32_e32 v18, v37, v18
	v_add_f32_e32 v20, v36, v20
	v_add_f32_e32 v22, v22, v31
	v_add_f32_e32 v23, v25, v23
	v_add_f32_e32 v24, v34, v24
	s_barrier
	ds_write2_b64 v4, v[0:1], v[5:6] offset1:11
	ds_write2_b64 v4, v[9:10], v[13:14] offset0:22 offset1:33
	ds_write2_b64 v4, v[17:18], v[21:22] offset0:44 offset1:55
	;; [unrolled: 1-line block ×4, first 2 shown]
	ds_write_b64 v4, v[7:8] offset:880
	v_add_u32_e32 v0, s7, v3
	v_cmp_gt_u32_e32 vcc, s2, v0
	s_mov_b32 s3, 0
	s_or_b64 s[12:13], s[18:19], vcc
	s_waitcnt lgkmcnt(0)
	s_barrier
	s_and_saveexec_b64 s[16:17], s[12:13]
	s_cbranch_execz .LBB0_13
; %bb.12:
	v_mad_u64_u32 v[4:5], s[12:13], s8, v3, 0
	s_load_dwordx2 s[4:5], s[4:5], 0x60
	s_mul_i32 s2, s6, s14
	s_mul_i32 s6, s9, s7
	s_mul_hi_u32 s11, s8, s7
	v_mov_b32_e32 v0, v5
	s_add_i32 s13, s11, s6
	s_mul_i32 s12, s8, s7
	v_mad_u64_u32 v[0:1], s[6:7], s9, v3, v[0:1]
	s_mul_i32 s1, s1, s21
	s_mul_hi_u32 s6, s0, s21
	s_add_i32 s1, s6, s1
	s_lshl_b64 s[6:7], s[12:13], 3
	s_waitcnt lgkmcnt(0)
	s_add_u32 s4, s4, s6
	s_addc_u32 s5, s5, s7
	s_lshl_b64 s[2:3], s[2:3], 3
	s_mul_i32 s0, s0, s21
	s_add_u32 s2, s4, s2
	v_mov_b32_e32 v5, v0
	v_mul_lo_u32 v6, s10, v2
	s_addc_u32 s3, s5, s3
	s_lshl_b64 s[0:1], s[0:1], 3
	v_mul_u32_u24_e32 v0, 0x3c8, v3
	v_lshlrev_b32_e32 v1, 3, v2
	s_add_u32 s0, s2, s0
	v_lshlrev_b64 v[4:5], 3, v[4:5]
	v_add3_u32 v8, 0, v0, v1
	s_addc_u32 s1, s3, s1
	v_mov_b32_e32 v7, 0
	ds_read2_b64 v[0:3], v8 offset1:11
	v_mov_b32_e32 v9, s1
	v_add_co_u32_e32 v10, vcc, s0, v4
	v_addc_co_u32_e32 v9, vcc, v9, v5, vcc
	v_lshlrev_b64 v[4:5], 3, v[6:7]
	s_mul_i32 s0, s10, 11
	v_add_co_u32_e32 v4, vcc, v10, v4
	v_addc_co_u32_e32 v5, vcc, v9, v5, vcc
	v_add_u32_e32 v6, s0, v6
	s_waitcnt lgkmcnt(0)
	global_store_dwordx2 v[4:5], v[0:1], off
	v_lshlrev_b64 v[0:1], 3, v[6:7]
	v_add_u32_e32 v6, s0, v6
	v_add_co_u32_e32 v0, vcc, v10, v0
	v_addc_co_u32_e32 v1, vcc, v9, v1, vcc
	global_store_dwordx2 v[0:1], v[2:3], off
	ds_read2_b64 v[0:3], v8 offset0:22 offset1:33
	v_lshlrev_b64 v[4:5], 3, v[6:7]
	v_add_u32_e32 v6, s0, v6
	v_add_co_u32_e32 v4, vcc, v10, v4
	v_addc_co_u32_e32 v5, vcc, v9, v5, vcc
	s_waitcnt lgkmcnt(0)
	global_store_dwordx2 v[4:5], v[0:1], off
	v_lshlrev_b64 v[0:1], 3, v[6:7]
	v_add_u32_e32 v6, s0, v6
	v_add_co_u32_e32 v0, vcc, v10, v0
	v_addc_co_u32_e32 v1, vcc, v9, v1, vcc
	global_store_dwordx2 v[0:1], v[2:3], off
	ds_read2_b64 v[0:3], v8 offset0:44 offset1:55
	v_lshlrev_b64 v[4:5], 3, v[6:7]
	v_add_u32_e32 v6, s0, v6
	v_add_co_u32_e32 v4, vcc, v10, v4
	v_addc_co_u32_e32 v5, vcc, v9, v5, vcc
	;; [unrolled: 12-line block ×4, first 2 shown]
	s_waitcnt lgkmcnt(0)
	global_store_dwordx2 v[4:5], v[0:1], off
	v_lshlrev_b64 v[0:1], 3, v[6:7]
	v_add_u32_e32 v6, s0, v6
	v_add_co_u32_e32 v0, vcc, v10, v0
	v_addc_co_u32_e32 v1, vcc, v9, v1, vcc
	global_store_dwordx2 v[0:1], v[2:3], off
	ds_read_b64 v[0:1], v8 offset:880
	v_lshlrev_b64 v[2:3], 3, v[6:7]
	v_add_co_u32_e32 v2, vcc, v10, v2
	v_addc_co_u32_e32 v3, vcc, v9, v3, vcc
	s_waitcnt lgkmcnt(0)
	global_store_dwordx2 v[2:3], v[0:1], off
.LBB0_13:
	s_endpgm
	.section	.rodata,"a",@progbits
	.p2align	6, 0x0
	.amdhsa_kernel fft_rtc_back_len121_factors_11_11_wgs_121_tpt_11_sp_op_CI_CI_sbrc_xy_z_unaligned
		.amdhsa_group_segment_fixed_size 0
		.amdhsa_private_segment_fixed_size 0
		.amdhsa_kernarg_size 104
		.amdhsa_user_sgpr_count 6
		.amdhsa_user_sgpr_private_segment_buffer 1
		.amdhsa_user_sgpr_dispatch_ptr 0
		.amdhsa_user_sgpr_queue_ptr 0
		.amdhsa_user_sgpr_kernarg_segment_ptr 1
		.amdhsa_user_sgpr_dispatch_id 0
		.amdhsa_user_sgpr_flat_scratch_init 0
		.amdhsa_user_sgpr_private_segment_size 0
		.amdhsa_uses_dynamic_stack 0
		.amdhsa_system_sgpr_private_segment_wavefront_offset 0
		.amdhsa_system_sgpr_workgroup_id_x 1
		.amdhsa_system_sgpr_workgroup_id_y 0
		.amdhsa_system_sgpr_workgroup_id_z 0
		.amdhsa_system_sgpr_workgroup_info 0
		.amdhsa_system_vgpr_workitem_id 0
		.amdhsa_next_free_vgpr 54
		.amdhsa_next_free_sgpr 32
		.amdhsa_reserve_vcc 1
		.amdhsa_reserve_flat_scratch 0
		.amdhsa_float_round_mode_32 0
		.amdhsa_float_round_mode_16_64 0
		.amdhsa_float_denorm_mode_32 3
		.amdhsa_float_denorm_mode_16_64 3
		.amdhsa_dx10_clamp 1
		.amdhsa_ieee_mode 1
		.amdhsa_fp16_overflow 0
		.amdhsa_exception_fp_ieee_invalid_op 0
		.amdhsa_exception_fp_denorm_src 0
		.amdhsa_exception_fp_ieee_div_zero 0
		.amdhsa_exception_fp_ieee_overflow 0
		.amdhsa_exception_fp_ieee_underflow 0
		.amdhsa_exception_fp_ieee_inexact 0
		.amdhsa_exception_int_div_zero 0
	.end_amdhsa_kernel
	.text
.Lfunc_end0:
	.size	fft_rtc_back_len121_factors_11_11_wgs_121_tpt_11_sp_op_CI_CI_sbrc_xy_z_unaligned, .Lfunc_end0-fft_rtc_back_len121_factors_11_11_wgs_121_tpt_11_sp_op_CI_CI_sbrc_xy_z_unaligned
                                        ; -- End function
	.section	.AMDGPU.csdata,"",@progbits
; Kernel info:
; codeLenInByte = 6396
; NumSgprs: 36
; NumVgprs: 54
; ScratchSize: 0
; MemoryBound: 0
; FloatMode: 240
; IeeeMode: 1
; LDSByteSize: 0 bytes/workgroup (compile time only)
; SGPRBlocks: 4
; VGPRBlocks: 13
; NumSGPRsForWavesPerEU: 36
; NumVGPRsForWavesPerEU: 54
; Occupancy: 4
; WaveLimiterHint : 1
; COMPUTE_PGM_RSRC2:SCRATCH_EN: 0
; COMPUTE_PGM_RSRC2:USER_SGPR: 6
; COMPUTE_PGM_RSRC2:TRAP_HANDLER: 0
; COMPUTE_PGM_RSRC2:TGID_X_EN: 1
; COMPUTE_PGM_RSRC2:TGID_Y_EN: 0
; COMPUTE_PGM_RSRC2:TGID_Z_EN: 0
; COMPUTE_PGM_RSRC2:TIDIG_COMP_CNT: 0
	.type	__hip_cuid_869706fa2dcb0e96,@object ; @__hip_cuid_869706fa2dcb0e96
	.section	.bss,"aw",@nobits
	.globl	__hip_cuid_869706fa2dcb0e96
__hip_cuid_869706fa2dcb0e96:
	.byte	0                               ; 0x0
	.size	__hip_cuid_869706fa2dcb0e96, 1

	.ident	"AMD clang version 19.0.0git (https://github.com/RadeonOpenCompute/llvm-project roc-6.4.0 25133 c7fe45cf4b819c5991fe208aaa96edf142730f1d)"
	.section	".note.GNU-stack","",@progbits
	.addrsig
	.addrsig_sym __hip_cuid_869706fa2dcb0e96
	.amdgpu_metadata
---
amdhsa.kernels:
  - .args:
      - .actual_access:  read_only
        .address_space:  global
        .offset:         0
        .size:           8
        .value_kind:     global_buffer
      - .offset:         8
        .size:           8
        .value_kind:     by_value
      - .actual_access:  read_only
        .address_space:  global
        .offset:         16
        .size:           8
        .value_kind:     global_buffer
      - .actual_access:  read_only
        .address_space:  global
        .offset:         24
        .size:           8
        .value_kind:     global_buffer
      - .actual_access:  read_only
        .address_space:  global
        .offset:         32
        .size:           8
        .value_kind:     global_buffer
      - .offset:         40
        .size:           8
        .value_kind:     by_value
      - .actual_access:  read_only
        .address_space:  global
        .offset:         48
        .size:           8
        .value_kind:     global_buffer
      - .actual_access:  read_only
        .address_space:  global
        .offset:         56
        .size:           8
        .value_kind:     global_buffer
      - .offset:         64
        .size:           4
        .value_kind:     by_value
      - .actual_access:  read_only
        .address_space:  global
        .offset:         72
        .size:           8
        .value_kind:     global_buffer
      - .actual_access:  read_only
        .address_space:  global
        .offset:         80
        .size:           8
        .value_kind:     global_buffer
      - .actual_access:  read_only
        .address_space:  global
        .offset:         88
        .size:           8
        .value_kind:     global_buffer
      - .actual_access:  write_only
        .address_space:  global
        .offset:         96
        .size:           8
        .value_kind:     global_buffer
    .group_segment_fixed_size: 0
    .kernarg_segment_align: 8
    .kernarg_segment_size: 104
    .language:       OpenCL C
    .language_version:
      - 2
      - 0
    .max_flat_workgroup_size: 121
    .name:           fft_rtc_back_len121_factors_11_11_wgs_121_tpt_11_sp_op_CI_CI_sbrc_xy_z_unaligned
    .private_segment_fixed_size: 0
    .sgpr_count:     36
    .sgpr_spill_count: 0
    .symbol:         fft_rtc_back_len121_factors_11_11_wgs_121_tpt_11_sp_op_CI_CI_sbrc_xy_z_unaligned.kd
    .uniform_work_group_size: 1
    .uses_dynamic_stack: false
    .vgpr_count:     54
    .vgpr_spill_count: 0
    .wavefront_size: 64
amdhsa.target:   amdgcn-amd-amdhsa--gfx906
amdhsa.version:
  - 1
  - 2
...

	.end_amdgpu_metadata
